;; amdgpu-corpus repo=ROCm/rocFFT kind=compiled arch=gfx1030 opt=O3
	.text
	.amdgcn_target "amdgcn-amd-amdhsa--gfx1030"
	.amdhsa_code_object_version 6
	.protected	fft_rtc_back_len125_factors_5_5_5_wgs_250_tpt_25_sp_op_CI_CI_sbrc_xy_z_unaligned_dirReg ; -- Begin function fft_rtc_back_len125_factors_5_5_5_wgs_250_tpt_25_sp_op_CI_CI_sbrc_xy_z_unaligned_dirReg
	.globl	fft_rtc_back_len125_factors_5_5_5_wgs_250_tpt_25_sp_op_CI_CI_sbrc_xy_z_unaligned_dirReg
	.p2align	8
	.type	fft_rtc_back_len125_factors_5_5_5_wgs_250_tpt_25_sp_op_CI_CI_sbrc_xy_z_unaligned_dirReg,@function
fft_rtc_back_len125_factors_5_5_5_wgs_250_tpt_25_sp_op_CI_CI_sbrc_xy_z_unaligned_dirReg: ; @fft_rtc_back_len125_factors_5_5_5_wgs_250_tpt_25_sp_op_CI_CI_sbrc_xy_z_unaligned_dirReg
; %bb.0:
	s_clause 0x1
	s_load_dwordx4 s[0:3], s[4:5], 0x10
	s_load_dwordx2 s[24:25], s[4:5], 0x20
	s_waitcnt lgkmcnt(0)
	s_load_dwordx4 s[12:15], s[0:1], 0x8
	s_clause 0x1
	s_load_dwordx4 s[16:19], s[2:3], 0x0
	s_load_dwordx2 s[20:21], s[2:3], 0x10
	s_waitcnt lgkmcnt(0)
	s_add_i32 s0, s14, -1
	s_mul_hi_u32 s0, s0, 0xcccccccd
	s_lshr_b32 s0, s0, 3
	s_add_i32 s0, s0, 1
	s_mul_i32 s0, s0, s12
	v_cvt_f32_u32_e32 v1, s0
	s_sub_i32 s7, 0, s0
	v_rcp_iflag_f32_e32 v1, v1
	v_mul_f32_e32 v1, 0x4f7ffffe, v1
	v_cvt_u32_f32_e32 v1, v1
	v_readfirstlane_b32 s1, v1
	v_cvt_f32_u32_e32 v1, s12
	s_mul_i32 s7, s7, s1
	s_mul_hi_u32 s7, s1, s7
	s_add_i32 s1, s1, s7
	s_mul_hi_u32 s1, s6, s1
	s_mul_i32 s7, s1, s0
	s_add_i32 s8, s1, 1
	s_sub_i32 s7, s6, s7
	s_sub_i32 s9, s7, s0
	s_cmp_ge_u32 s7, s0
	s_cselect_b32 s1, s8, s1
	s_cselect_b32 s7, s9, s7
	s_add_i32 s8, s1, 1
	s_cmp_ge_u32 s7, s0
	s_mov_b32 s7, 0
	s_cselect_b32 s15, s8, s1
	s_mov_b32 s9, s7
	s_mul_i32 s0, s15, s0
	s_sub_i32 s8, s6, s0
	v_cmp_lt_u64_e64 s0, s[8:9], s[12:13]
	s_and_b32 vcc_lo, exec_lo, s0
	s_mov_b64 s[0:1], 0
	s_cbranch_vccnz .LBB0_2
; %bb.1:
	v_rcp_iflag_f32_e32 v2, v1
	s_sub_i32 s1, 0, s12
	v_mul_f32_e32 v2, 0x4f7ffffe, v2
	v_cvt_u32_f32_e32 v2, v2
	v_readfirstlane_b32 s0, v2
	s_mul_i32 s1, s1, s0
	s_mul_hi_u32 s1, s0, s1
	s_add_i32 s0, s0, s1
	s_mul_hi_u32 s0, s8, s0
	s_mul_i32 s1, s0, s12
	s_sub_i32 s1, s8, s1
	s_add_i32 s8, s0, 1
	s_sub_i32 s9, s1, s12
	s_cmp_ge_u32 s1, s12
	s_cselect_b32 s0, s8, s0
	s_cselect_b32 s1, s9, s1
	s_add_i32 s8, s0, 1
	s_cmp_ge_u32 s1, s12
	s_cselect_b32 s0, s8, s0
.LBB0_2:
	s_load_dwordx2 s[22:23], s[4:5], 0x58
	v_cmp_lt_u64_e64 s1, s[6:7], s[12:13]
	s_and_b32 vcc_lo, exec_lo, s1
	s_cbranch_vccnz .LBB0_4
; %bb.3:
	v_rcp_iflag_f32_e32 v1, v1
	s_sub_i32 s7, 0, s12
	v_mul_f32_e32 v1, 0x4f7ffffe, v1
	v_cvt_u32_f32_e32 v1, v1
	v_readfirstlane_b32 s1, v1
	s_mul_i32 s7, s7, s1
	s_mul_hi_u32 s7, s1, s7
	s_add_i32 s1, s1, s7
	s_mul_hi_u32 s1, s6, s1
	s_mul_i32 s1, s1, s12
	s_sub_i32 s1, s6, s1
	s_sub_i32 s6, s1, s12
	s_cmp_ge_u32 s1, s12
	s_cselect_b32 s1, s6, s1
	s_sub_i32 s6, s1, s12
	s_cmp_ge_u32 s1, s12
	s_cselect_b32 s6, s6, s1
.LBB0_4:
	s_load_dwordx4 s[8:11], s[4:5], 0x0
	s_mul_i32 s21, s0, 10
	s_mul_i32 s0, s6, s18
	s_mul_i32 s1, s21, s20
	v_mul_u32_u24_e32 v1, 0x20d, v0
	s_add_i32 s7, s0, s1
	v_lshrrev_b32_e32 v3, 16, v1
	v_mul_lo_u16 v1, 0x7d, v3
	v_sub_nc_u16 v1, v0, v1
	s_waitcnt lgkmcnt(0)
	s_lshl_b64 s[12:13], s[10:11], 3
	s_add_u32 s0, s2, s12
	s_addc_u32 s1, s3, s13
	v_and_b32_e32 v4, 0xffff, v1
	s_load_dwordx2 s[18:19], s[0:1], 0x0
	s_clause 0x1
	s_load_dwordx4 s[0:3], s[24:25], 0x0
	s_load_dwordx2 s[10:11], s[24:25], 0x10
	s_waitcnt lgkmcnt(0)
	s_mul_i32 s3, s19, s15
	s_mul_hi_u32 s11, s18, s15
	s_mul_i32 s18, s18, s15
	s_add_i32 s11, s11, s3
	s_add_u32 s18, s18, s7
	s_addc_u32 s19, s11, 0
	s_add_u32 s12, s24, s12
	s_addc_u32 s13, s25, s13
	s_add_i32 s3, s21, 10
	s_load_dwordx2 s[12:13], s[12:13], 0x0
	s_cmp_le_u32 s3, s14
	s_mov_b32 s7, -1
	s_cselect_b32 s3, -1, 0
	s_and_b32 vcc_lo, exec_lo, s3
	s_cbranch_vccnz .LBB0_9
; %bb.5:
	v_add_nc_u32_e32 v5, s21, v3
	s_mov_b32 s7, exec_lo
	v_cmpx_gt_u32_e64 s14, v5
	s_cbranch_execz .LBB0_8
; %bb.6:
	v_mad_u64_u32 v[1:2], null, s16, v4, 0
	s_lshl_b64 s[24:25], s[18:19], 3
	v_lshlrev_b32_e32 v9, 3, v3
	s_add_u32 s11, s22, s24
	s_addc_u32 s24, s23, s25
	s_mov_b32 s25, 0
	v_mad_u64_u32 v[6:7], null, s17, v4, v[2:3]
	v_mov_b32_e32 v2, v6
	v_mul_u32_u24_e32 v6, 0x50, v4
	v_lshlrev_b64 v[7:8], 3, v[1:2]
	v_mul_lo_u32 v1, v3, s20
	v_add3_u32 v6, v6, v9, 0
	v_mov_b32_e32 v2, 0
	v_add_co_u32 v7, vcc_lo, s11, v7
	v_add_co_ci_u32_e32 v8, vcc_lo, s24, v8, vcc_lo
	s_mov_b32 s11, 0
	s_lshl_b32 s24, s20, 1
	.p2align	6
.LBB0_7:                                ; =>This Inner Loop Header: Depth=1
	v_lshlrev_b64 v[9:10], 3, v[1:2]
	s_add_i32 s25, s25, 2
	v_add_nc_u32_e32 v1, s24, v1
	v_add_nc_u32_e32 v11, s25, v5
	v_add_co_u32 v9, vcc_lo, v7, v9
	v_add_co_ci_u32_e32 v10, vcc_lo, v8, v10, vcc_lo
	v_cmp_le_u32_e32 vcc_lo, s14, v11
	global_load_dwordx2 v[9:10], v[9:10], off
	s_or_b32 s11, vcc_lo, s11
	s_waitcnt vmcnt(0)
	ds_write_b64 v6, v[9:10]
	v_add_nc_u32_e32 v6, 16, v6
	s_andn2_b32 exec_lo, exec_lo, s11
	s_cbranch_execnz .LBB0_7
.LBB0_8:
	s_or_b32 exec_lo, exec_lo, s7
	s_mov_b32 s7, 0
.LBB0_9:
	s_andn2_b32 vcc_lo, exec_lo, s7
	s_cbranch_vccnz .LBB0_11
; %bb.10:
	v_mad_u64_u32 v[1:2], null, s16, v4, 0
	v_mul_lo_u32 v5, s20, v3
	s_lshl_b64 s[18:19], s[18:19], 3
	v_mov_b32_e32 v6, 0
	s_add_u32 s7, s22, s18
	s_addc_u32 s11, s23, s19
	s_lshl_b32 s16, s20, 1
	v_mad_u64_u32 v[9:10], null, s17, v4, v[2:3]
	v_lshlrev_b64 v[7:8], 3, v[5:6]
	v_add_nc_u32_e32 v5, s16, v5
	v_mul_u32_u24_e32 v4, 0x50, v4
	v_lshlrev_b32_e32 v3, 3, v3
	v_lshlrev_b64 v[10:11], 3, v[5:6]
	v_mov_b32_e32 v2, v9
	v_add_nc_u32_e32 v5, s16, v5
	v_add3_u32 v3, 0, v4, v3
	v_lshlrev_b64 v[1:2], 3, v[1:2]
	v_lshlrev_b64 v[12:13], 3, v[5:6]
	v_add_nc_u32_e32 v5, s16, v5
	v_add_co_u32 v16, vcc_lo, s7, v1
	v_lshlrev_b64 v[14:15], 3, v[5:6]
	v_add_nc_u32_e32 v5, s16, v5
	v_add_co_ci_u32_e32 v17, vcc_lo, s11, v2, vcc_lo
	v_lshlrev_b64 v[1:2], 3, v[5:6]
	v_add_co_u32 v5, vcc_lo, v16, v7
	v_add_co_ci_u32_e32 v6, vcc_lo, v17, v8, vcc_lo
	v_add_co_u32 v7, vcc_lo, v16, v10
	v_add_co_ci_u32_e32 v8, vcc_lo, v17, v11, vcc_lo
	v_add_co_u32 v9, vcc_lo, v16, v12
	v_add_co_ci_u32_e32 v10, vcc_lo, v17, v13, vcc_lo
	v_add_co_u32 v11, vcc_lo, v16, v14
	v_add_co_ci_u32_e32 v12, vcc_lo, v17, v15, vcc_lo
	v_add_co_u32 v1, vcc_lo, v16, v1
	v_add_co_ci_u32_e32 v2, vcc_lo, v17, v2, vcc_lo
	s_clause 0x4
	global_load_dwordx2 v[5:6], v[5:6], off
	global_load_dwordx2 v[7:8], v[7:8], off
	;; [unrolled: 1-line block ×5, first 2 shown]
	s_waitcnt vmcnt(3)
	ds_write2_b64 v3, v[5:6], v[7:8] offset1:2
	s_waitcnt vmcnt(1)
	ds_write2_b64 v3, v[9:10], v[11:12] offset0:4 offset1:6
	s_waitcnt vmcnt(0)
	ds_write_b64 v3, v[1:2] offset:64
.LBB0_11:
	v_mov_b32_e32 v1, 0x199a
	v_mul_hi_u32 v3, 0x1999999a, v0
	s_waitcnt lgkmcnt(0)
	s_barrier
	buffer_gl0_inv
	v_mul_u32_u24_sdwa v1, v0, v1 dst_sel:DWORD dst_unused:UNUSED_PAD src0_sel:WORD_0 src1_sel:DWORD
	s_mov_b32 s7, 0
	v_mul_u32_u24_e32 v2, 0x50, v3
	v_lshrrev_b32_e32 v1, 16, v1
	v_mul_hi_u32 v14, 0x33333334, v3
	v_mul_lo_u16 v1, v1, 10
	v_mul_u32_u24_e32 v14, 5, v14
	v_sub_nc_u16 v1, v0, v1
	v_sub_nc_u32_e32 v22, v3, v14
	v_and_b32_e32 v1, 0xffff, v1
	v_lshlrev_b32_e32 v16, 5, v22
	v_lshlrev_b32_e32 v24, 3, v1
	v_add3_u32 v2, 0, v2, v24
	ds_read2_b64 v[4:7], v2 offset1:250
	v_add_nc_u32_e32 v8, 0xf80, v2
	v_mad_u32_u24 v17, 0x140, v3, v2
	ds_read_b64 v[12:13], v2 offset:8000
	ds_read2_b64 v[8:11], v8 offset0:4 offset1:254
	s_waitcnt lgkmcnt(0)
	s_barrier
	buffer_gl0_inv
	v_add_f32_e32 v14, v4, v6
	v_add_f32_e32 v19, v5, v7
	;; [unrolled: 1-line block ×8, first 2 shown]
	v_sub_f32_e32 v26, v9, v11
	v_fma_f32 v14, -0.5, v15, v4
	v_sub_f32_e32 v32, v8, v10
	v_fma_f32 v15, -0.5, v21, v5
	v_sub_f32_e32 v18, v7, v13
	v_sub_f32_e32 v20, v6, v12
	;; [unrolled: 1-line block ×10, first 2 shown]
	v_add_f32_e32 v10, v23, v10
	v_fma_f32 v4, -0.5, v25, v4
	v_add_f32_e32 v11, v19, v11
	v_fma_f32 v5, -0.5, v31, v5
	v_fmamk_f32 v6, v26, 0x3f737871, v14
	v_fmac_f32_e32 v14, 0xbf737871, v26
	v_fmamk_f32 v7, v32, 0xbf737871, v15
	v_fmac_f32_e32 v15, 0x3f737871, v32
	v_add_f32_e32 v19, v8, v33
	v_add_f32_e32 v21, v9, v21
	;; [unrolled: 1-line block ×3, first 2 shown]
	v_fmamk_f32 v10, v18, 0xbf737871, v4
	v_add_f32_e32 v9, v11, v13
	v_fmamk_f32 v11, v20, 0x3f737871, v5
	v_fmac_f32_e32 v4, 0x3f737871, v18
	v_fmac_f32_e32 v5, 0xbf737871, v20
	v_add_f32_e32 v25, v29, v30
	v_fmac_f32_e32 v6, 0xbf167918, v18
	v_fmac_f32_e32 v14, 0x3f167918, v18
	;; [unrolled: 1-line block ×4, first 2 shown]
	v_add_f32_e32 v23, v27, v28
	v_fmac_f32_e32 v10, 0xbf167918, v26
	v_fmac_f32_e32 v11, 0x3f167918, v32
	;; [unrolled: 1-line block ×12, first 2 shown]
	ds_write2_b64 v17, v[6:7], v[14:15] offset0:20 offset1:30
	ds_write2_b64 v17, v[8:9], v[10:11] offset1:10
	ds_write_b64 v17, v[4:5] offset:320
	s_waitcnt lgkmcnt(0)
	s_barrier
	buffer_gl0_inv
	s_clause 0x1
	global_load_dwordx4 v[6:9], v16, s[8:9]
	global_load_dwordx4 v[10:13], v16, s[8:9] offset:16
	v_add_nc_u32_e32 v4, 0x7c0, v2
	v_add_nc_u32_e32 v5, 0x1760, v2
	v_mul_hi_u32 v23, 0x51eb852, v0
	ds_read2_b64 v[14:17], v4 offset0:2 offset1:252
	ds_read2_b64 v[18:21], v5 offset0:2 offset1:252
	v_mad_u32_u24 v22, v23, 25, v22
	v_add_nc_u32_e32 v23, s21, v1
	v_mul_i32_i24_e32 v25, 0x50, v22
	v_cmp_gt_u32_e32 vcc_lo, s14, v23
	ds_read2_b32 v[22:23], v2 offset1:1
	s_waitcnt vmcnt(0) lgkmcnt(0)
	s_barrier
	v_add3_u32 v24, 0, v25, v24
	s_or_b32 s3, s3, vcc_lo
	buffer_gl0_inv
	v_mul_f32_e32 v25, v7, v15
	v_mul_f32_e32 v7, v7, v14
	;; [unrolled: 1-line block ×8, first 2 shown]
	v_fmac_f32_e32 v25, v6, v14
	v_fma_f32 v6, v6, v15, -v7
	v_fmac_f32_e32 v26, v8, v16
	v_fma_f32 v7, v8, v17, -v9
	;; [unrolled: 2-line block ×4, first 2 shown]
	v_add_f32_e32 v8, v25, v22
	v_add_f32_e32 v10, v26, v27
	v_sub_f32_e32 v11, v25, v26
	v_sub_f32_e32 v12, v28, v27
	v_add_f32_e32 v19, v23, v6
	v_add_f32_e32 v20, v7, v9
	;; [unrolled: 1-line block ×4, first 2 shown]
	v_sub_f32_e32 v14, v6, v13
	v_sub_f32_e32 v15, v7, v9
	;; [unrolled: 1-line block ×7, first 2 shown]
	v_add_f32_e32 v8, v8, v26
	v_fma_f32 v6, -0.5, v10, v22
	v_add_f32_e32 v26, v11, v12
	v_add_f32_e32 v11, v19, v7
	v_fma_f32 v7, -0.5, v20, v23
	v_fma_f32 v22, -0.5, v16, v22
	v_fmac_f32_e32 v23, -0.5, v31
	v_sub_f32_e32 v18, v27, v28
	v_sub_f32_e32 v30, v13, v9
	;; [unrolled: 1-line block ×3, first 2 shown]
	v_add_f32_e32 v12, v8, v27
	v_fmamk_f32 v8, v14, 0xbf737871, v6
	v_add_f32_e32 v19, v11, v9
	v_fmamk_f32 v9, v21, 0x3f737871, v7
	v_fmamk_f32 v10, v15, 0x3f737871, v22
	v_fmac_f32_e32 v22, 0xbf737871, v15
	v_fmamk_f32 v11, v25, 0xbf737871, v23
	v_fmac_f32_e32 v23, 0x3f737871, v25
	v_fmac_f32_e32 v6, 0x3f737871, v14
	;; [unrolled: 1-line block ×3, first 2 shown]
	v_add_f32_e32 v16, v17, v18
	v_add_f32_e32 v17, v29, v30
	v_fmac_f32_e32 v8, 0xbf167918, v15
	v_fmac_f32_e32 v9, 0x3f167918, v25
	v_add_f32_e32 v18, v32, v33
	v_fmac_f32_e32 v10, 0xbf167918, v14
	v_fmac_f32_e32 v22, 0x3f167918, v14
	;; [unrolled: 1-line block ×6, first 2 shown]
	v_add_f32_e32 v12, v12, v28
	v_add_f32_e32 v13, v19, v13
	v_fmac_f32_e32 v8, 0x3e9e377a, v26
	v_fmac_f32_e32 v9, 0x3e9e377a, v17
	v_fmac_f32_e32 v10, 0x3e9e377a, v16
	v_fmac_f32_e32 v22, 0x3e9e377a, v16
	v_fmac_f32_e32 v11, 0x3e9e377a, v18
	v_fmac_f32_e32 v23, 0x3e9e377a, v18
	v_fmac_f32_e32 v6, 0x3e9e377a, v26
	v_fmac_f32_e32 v7, 0x3e9e377a, v17
	ds_write2_b64 v24, v[12:13], v[8:9] offset1:50
	ds_write2_b64 v24, v[10:11], v[22:23] offset0:100 offset1:150
	ds_write_b64 v24, v[6:7] offset:1600
	s_waitcnt lgkmcnt(0)
	s_barrier
	buffer_gl0_inv
	s_and_saveexec_b32 s11, s3
	s_cbranch_execz .LBB0_13
; %bb.12:
	v_mul_hi_u32 v6, 0xa3d70a4, v3
	v_mad_u64_u32 v[22:23], null, s0, v1, 0
	s_load_dwordx2 s[4:5], s[4:5], 0x60
	s_mul_i32 s3, s1, s21
	s_mul_i32 s6, s6, s10
	;; [unrolled: 1-line block ×3, first 2 shown]
	s_mul_hi_u32 s11, s12, s15
	v_mul_u32_u24_e32 v6, 25, v6
	v_sub_nc_u32_e32 v24, v3, v6
	v_lshlrev_b32_e32 v3, 5, v24
	s_clause 0x1
	global_load_dwordx4 v[6:9], v3, s[8:9] offset:160
	global_load_dwordx4 v[10:13], v3, s[8:9] offset:176
	v_mov_b32_e32 v3, v23
	ds_read2_b64 v[14:17], v4 offset0:2 offset1:252
	ds_read2_b64 v[18:21], v5 offset0:2 offset1:252
	v_mul_hi_u32 v5, 0x10624de, v0
	s_mul_hi_u32 s9, s0, s21
	s_mul_i32 s0, s0, s21
	v_mad_u64_u32 v[0:1], null, s1, v1, v[3:4]
	s_add_i32 s1, s9, s3
	s_add_i32 s9, s11, s10
	s_lshl_b64 s[0:1], s[0:1], 3
	v_mad_u32_u24 v3, 0x7d, v5, v24
	v_mov_b32_e32 v4, 0
	s_waitcnt lgkmcnt(0)
	s_add_u32 s3, s4, s0
	v_mov_b32_e32 v23, v0
	s_addc_u32 s4, s5, s1
	v_mul_lo_u32 v3, v3, s2
	s_lshl_b64 s[0:1], s[6:7], 3
	s_mul_i32 s8, s12, s15
	v_lshlrev_b64 v[22:23], 3, v[22:23]
	s_mul_i32 s2, s2, 25
	s_add_u32 s3, s3, s0
	s_addc_u32 s4, s4, s1
	s_lshl_b64 s[0:1], s[8:9], 3
	v_lshlrev_b64 v[24:25], 3, v[3:4]
	v_add_nc_u32_e32 v3, s2, v3
	s_add_u32 s0, s3, s0
	s_addc_u32 s1, s4, s1
	v_add_co_u32 v0, vcc_lo, s0, v22
	v_add_co_ci_u32_e32 v5, vcc_lo, s1, v23, vcc_lo
	v_lshlrev_b64 v[22:23], 3, v[3:4]
	v_add_nc_u32_e32 v3, s2, v3
	v_add_co_u32 v24, vcc_lo, v0, v24
	v_add_co_ci_u32_e32 v25, vcc_lo, v5, v25, vcc_lo
	v_lshlrev_b64 v[26:27], 3, v[3:4]
	v_add_nc_u32_e32 v3, s2, v3
	v_add_co_u32 v22, vcc_lo, v0, v22
	ds_read2_b32 v[1:2], v2 offset1:1
	v_add_co_ci_u32_e32 v23, vcc_lo, v5, v23, vcc_lo
	v_lshlrev_b64 v[28:29], 3, v[3:4]
	v_add_nc_u32_e32 v3, s2, v3
	v_add_co_u32 v26, vcc_lo, v0, v26
	v_add_co_ci_u32_e32 v27, vcc_lo, v5, v27, vcc_lo
	v_lshlrev_b64 v[3:4], 3, v[3:4]
	v_add_co_u32 v28, vcc_lo, v0, v28
	v_add_co_ci_u32_e32 v29, vcc_lo, v5, v29, vcc_lo
	v_add_co_u32 v3, vcc_lo, v0, v3
	v_add_co_ci_u32_e32 v4, vcc_lo, v5, v4, vcc_lo
	s_waitcnt vmcnt(1)
	v_mul_f32_e32 v0, v9, v16
	v_mul_f32_e32 v5, v7, v14
	s_waitcnt vmcnt(0)
	v_mul_f32_e32 v30, v11, v18
	v_mul_f32_e32 v31, v13, v20
	;; [unrolled: 1-line block ×6, first 2 shown]
	v_fma_f32 v0, v8, v17, -v0
	v_fma_f32 v5, v6, v15, -v5
	;; [unrolled: 1-line block ×4, first 2 shown]
	v_fmac_f32_e32 v9, v8, v16
	v_fmac_f32_e32 v11, v10, v18
	;; [unrolled: 1-line block ×4, first 2 shown]
	v_sub_f32_e32 v6, v0, v5
	v_sub_f32_e32 v8, v15, v17
	v_add_f32_e32 v10, v5, v17
	v_sub_f32_e32 v16, v5, v0
	v_add_f32_e32 v19, v0, v15
	s_waitcnt lgkmcnt(0)
	v_add_f32_e32 v20, v2, v5
	v_sub_f32_e32 v31, v5, v17
	v_add_f32_e32 v5, v7, v13
	v_add_f32_e32 v35, v9, v11
	v_sub_f32_e32 v14, v7, v13
	v_sub_f32_e32 v21, v9, v7
	;; [unrolled: 1-line block ×3, first 2 shown]
	v_add_f32_e32 v7, v7, v1
	v_add_f32_e32 v36, v6, v8
	v_fma_f32 v6, -0.5, v10, v2
	v_fma_f32 v2, -0.5, v19, v2
	;; [unrolled: 1-line block ×4, first 2 shown]
	v_sub_f32_e32 v12, v9, v11
	v_sub_f32_e32 v32, v0, v15
	v_add_f32_e32 v0, v20, v0
	v_add_f32_e32 v20, v7, v9
	v_sub_f32_e32 v18, v17, v15
	v_sub_f32_e32 v34, v13, v11
	v_fmamk_f32 v10, v14, 0xbf737871, v2
	v_fmac_f32_e32 v2, 0x3f737871, v14
	v_fmamk_f32 v9, v31, 0x3f737871, v1
	v_fmac_f32_e32 v1, 0xbf737871, v31
	v_sub_f32_e32 v30, v11, v13
	v_fmamk_f32 v8, v12, 0x3f737871, v6
	v_fmac_f32_e32 v6, 0xbf737871, v12
	v_fmamk_f32 v7, v32, 0xbf737871, v5
	v_fmac_f32_e32 v5, 0x3f737871, v32
	v_add_f32_e32 v0, v0, v15
	v_add_f32_e32 v11, v20, v11
	v_add_f32_e32 v16, v16, v18
	v_add_f32_e32 v19, v33, v34
	v_fmac_f32_e32 v2, 0x3f167918, v12
	v_fmac_f32_e32 v1, 0xbf167918, v32
	v_add_f32_e32 v18, v21, v30
	v_fmac_f32_e32 v6, 0x3f167918, v14
	v_fmac_f32_e32 v5, 0xbf167918, v31
	;; [unrolled: 1-line block ×6, first 2 shown]
	v_add_f32_e32 v12, v0, v17
	v_add_f32_e32 v11, v11, v13
	v_fmac_f32_e32 v2, 0x3e9e377a, v16
	v_fmac_f32_e32 v1, 0x3e9e377a, v19
	;; [unrolled: 1-line block ×8, first 2 shown]
	global_store_dwordx2 v[24:25], v[11:12], off
	global_store_dwordx2 v[22:23], v[1:2], off
	;; [unrolled: 1-line block ×5, first 2 shown]
.LBB0_13:
	s_endpgm
	.section	.rodata,"a",@progbits
	.p2align	6, 0x0
	.amdhsa_kernel fft_rtc_back_len125_factors_5_5_5_wgs_250_tpt_25_sp_op_CI_CI_sbrc_xy_z_unaligned_dirReg
		.amdhsa_group_segment_fixed_size 0
		.amdhsa_private_segment_fixed_size 0
		.amdhsa_kernarg_size 104
		.amdhsa_user_sgpr_count 6
		.amdhsa_user_sgpr_private_segment_buffer 1
		.amdhsa_user_sgpr_dispatch_ptr 0
		.amdhsa_user_sgpr_queue_ptr 0
		.amdhsa_user_sgpr_kernarg_segment_ptr 1
		.amdhsa_user_sgpr_dispatch_id 0
		.amdhsa_user_sgpr_flat_scratch_init 0
		.amdhsa_user_sgpr_private_segment_size 0
		.amdhsa_wavefront_size32 1
		.amdhsa_uses_dynamic_stack 0
		.amdhsa_system_sgpr_private_segment_wavefront_offset 0
		.amdhsa_system_sgpr_workgroup_id_x 1
		.amdhsa_system_sgpr_workgroup_id_y 0
		.amdhsa_system_sgpr_workgroup_id_z 0
		.amdhsa_system_sgpr_workgroup_info 0
		.amdhsa_system_vgpr_workitem_id 0
		.amdhsa_next_free_vgpr 37
		.amdhsa_next_free_sgpr 26
		.amdhsa_reserve_vcc 1
		.amdhsa_reserve_flat_scratch 0
		.amdhsa_float_round_mode_32 0
		.amdhsa_float_round_mode_16_64 0
		.amdhsa_float_denorm_mode_32 3
		.amdhsa_float_denorm_mode_16_64 3
		.amdhsa_dx10_clamp 1
		.amdhsa_ieee_mode 1
		.amdhsa_fp16_overflow 0
		.amdhsa_workgroup_processor_mode 1
		.amdhsa_memory_ordered 1
		.amdhsa_forward_progress 0
		.amdhsa_shared_vgpr_count 0
		.amdhsa_exception_fp_ieee_invalid_op 0
		.amdhsa_exception_fp_denorm_src 0
		.amdhsa_exception_fp_ieee_div_zero 0
		.amdhsa_exception_fp_ieee_overflow 0
		.amdhsa_exception_fp_ieee_underflow 0
		.amdhsa_exception_fp_ieee_inexact 0
		.amdhsa_exception_int_div_zero 0
	.end_amdhsa_kernel
	.text
.Lfunc_end0:
	.size	fft_rtc_back_len125_factors_5_5_5_wgs_250_tpt_25_sp_op_CI_CI_sbrc_xy_z_unaligned_dirReg, .Lfunc_end0-fft_rtc_back_len125_factors_5_5_5_wgs_250_tpt_25_sp_op_CI_CI_sbrc_xy_z_unaligned_dirReg
                                        ; -- End function
	.section	.AMDGPU.csdata,"",@progbits
; Kernel info:
; codeLenInByte = 3008
; NumSgprs: 28
; NumVgprs: 37
; ScratchSize: 0
; MemoryBound: 0
; FloatMode: 240
; IeeeMode: 1
; LDSByteSize: 0 bytes/workgroup (compile time only)
; SGPRBlocks: 3
; VGPRBlocks: 4
; NumSGPRsForWavesPerEU: 28
; NumVGPRsForWavesPerEU: 37
; Occupancy: 16
; WaveLimiterHint : 1
; COMPUTE_PGM_RSRC2:SCRATCH_EN: 0
; COMPUTE_PGM_RSRC2:USER_SGPR: 6
; COMPUTE_PGM_RSRC2:TRAP_HANDLER: 0
; COMPUTE_PGM_RSRC2:TGID_X_EN: 1
; COMPUTE_PGM_RSRC2:TGID_Y_EN: 0
; COMPUTE_PGM_RSRC2:TGID_Z_EN: 0
; COMPUTE_PGM_RSRC2:TIDIG_COMP_CNT: 0
	.text
	.p2alignl 6, 3214868480
	.fill 48, 4, 3214868480
	.type	__hip_cuid_7275340ceecc158e,@object ; @__hip_cuid_7275340ceecc158e
	.section	.bss,"aw",@nobits
	.globl	__hip_cuid_7275340ceecc158e
__hip_cuid_7275340ceecc158e:
	.byte	0                               ; 0x0
	.size	__hip_cuid_7275340ceecc158e, 1

	.ident	"AMD clang version 19.0.0git (https://github.com/RadeonOpenCompute/llvm-project roc-6.4.0 25133 c7fe45cf4b819c5991fe208aaa96edf142730f1d)"
	.section	".note.GNU-stack","",@progbits
	.addrsig
	.addrsig_sym __hip_cuid_7275340ceecc158e
	.amdgpu_metadata
---
amdhsa.kernels:
  - .args:
      - .actual_access:  read_only
        .address_space:  global
        .offset:         0
        .size:           8
        .value_kind:     global_buffer
      - .offset:         8
        .size:           8
        .value_kind:     by_value
      - .actual_access:  read_only
        .address_space:  global
        .offset:         16
        .size:           8
        .value_kind:     global_buffer
      - .actual_access:  read_only
        .address_space:  global
        .offset:         24
        .size:           8
        .value_kind:     global_buffer
      - .actual_access:  read_only
        .address_space:  global
        .offset:         32
        .size:           8
        .value_kind:     global_buffer
      - .offset:         40
        .size:           8
        .value_kind:     by_value
      - .actual_access:  read_only
        .address_space:  global
        .offset:         48
        .size:           8
        .value_kind:     global_buffer
      - .actual_access:  read_only
        .address_space:  global
        .offset:         56
        .size:           8
        .value_kind:     global_buffer
      - .offset:         64
        .size:           4
        .value_kind:     by_value
      - .actual_access:  read_only
        .address_space:  global
        .offset:         72
        .size:           8
        .value_kind:     global_buffer
      - .actual_access:  read_only
        .address_space:  global
        .offset:         80
        .size:           8
        .value_kind:     global_buffer
      - .actual_access:  read_only
        .address_space:  global
        .offset:         88
        .size:           8
        .value_kind:     global_buffer
      - .actual_access:  write_only
        .address_space:  global
        .offset:         96
        .size:           8
        .value_kind:     global_buffer
    .group_segment_fixed_size: 0
    .kernarg_segment_align: 8
    .kernarg_segment_size: 104
    .language:       OpenCL C
    .language_version:
      - 2
      - 0
    .max_flat_workgroup_size: 250
    .name:           fft_rtc_back_len125_factors_5_5_5_wgs_250_tpt_25_sp_op_CI_CI_sbrc_xy_z_unaligned_dirReg
    .private_segment_fixed_size: 0
    .sgpr_count:     28
    .sgpr_spill_count: 0
    .symbol:         fft_rtc_back_len125_factors_5_5_5_wgs_250_tpt_25_sp_op_CI_CI_sbrc_xy_z_unaligned_dirReg.kd
    .uniform_work_group_size: 1
    .uses_dynamic_stack: false
    .vgpr_count:     37
    .vgpr_spill_count: 0
    .wavefront_size: 32
    .workgroup_processor_mode: 1
amdhsa.target:   amdgcn-amd-amdhsa--gfx1030
amdhsa.version:
  - 1
  - 2
...

	.end_amdgpu_metadata
